;; amdgpu-corpus repo=ROCm/rocFFT kind=compiled arch=gfx1030 opt=O3
	.text
	.amdgcn_target "amdgcn-amd-amdhsa--gfx1030"
	.amdhsa_code_object_version 6
	.protected	fft_rtc_fwd_len528_factors_4_4_3_11_wgs_48_tpt_48_halfLds_dp_op_CI_CI_unitstride_sbrr_R2C_dirReg ; -- Begin function fft_rtc_fwd_len528_factors_4_4_3_11_wgs_48_tpt_48_halfLds_dp_op_CI_CI_unitstride_sbrr_R2C_dirReg
	.globl	fft_rtc_fwd_len528_factors_4_4_3_11_wgs_48_tpt_48_halfLds_dp_op_CI_CI_unitstride_sbrr_R2C_dirReg
	.p2align	8
	.type	fft_rtc_fwd_len528_factors_4_4_3_11_wgs_48_tpt_48_halfLds_dp_op_CI_CI_unitstride_sbrr_R2C_dirReg,@function
fft_rtc_fwd_len528_factors_4_4_3_11_wgs_48_tpt_48_halfLds_dp_op_CI_CI_unitstride_sbrr_R2C_dirReg: ; @fft_rtc_fwd_len528_factors_4_4_3_11_wgs_48_tpt_48_halfLds_dp_op_CI_CI_unitstride_sbrr_R2C_dirReg
; %bb.0:
	s_clause 0x2
	s_load_dwordx4 s[12:15], s[4:5], 0x0
	s_load_dwordx4 s[8:11], s[4:5], 0x58
	;; [unrolled: 1-line block ×3, first 2 shown]
	v_mul_u32_u24_e32 v1, 0x556, v0
	v_mov_b32_e32 v3, 0
	v_add_nc_u32_sdwa v5, s6, v1 dst_sel:DWORD dst_unused:UNUSED_PAD src0_sel:DWORD src1_sel:WORD_1
	v_mov_b32_e32 v1, 0
	v_mov_b32_e32 v6, v3
	v_mov_b32_e32 v2, 0
	s_waitcnt lgkmcnt(0)
	v_cmp_lt_u64_e64 s0, s[14:15], 2
	s_and_b32 vcc_lo, exec_lo, s0
	s_cbranch_vccnz .LBB0_8
; %bb.1:
	s_load_dwordx2 s[0:1], s[4:5], 0x10
	v_mov_b32_e32 v1, 0
	v_mov_b32_e32 v2, 0
	s_add_u32 s2, s18, 8
	s_addc_u32 s3, s19, 0
	s_add_u32 s6, s16, 8
	s_addc_u32 s7, s17, 0
	v_mov_b32_e32 v57, v2
	v_mov_b32_e32 v56, v1
	s_mov_b64 s[22:23], 1
	s_waitcnt lgkmcnt(0)
	s_add_u32 s20, s0, 8
	s_addc_u32 s21, s1, 0
.LBB0_2:                                ; =>This Inner Loop Header: Depth=1
	s_load_dwordx2 s[24:25], s[20:21], 0x0
                                        ; implicit-def: $vgpr60_vgpr61
	s_mov_b32 s0, exec_lo
	s_waitcnt lgkmcnt(0)
	v_or_b32_e32 v4, s25, v6
	v_cmpx_ne_u64_e32 0, v[3:4]
	s_xor_b32 s1, exec_lo, s0
	s_cbranch_execz .LBB0_4
; %bb.3:                                ;   in Loop: Header=BB0_2 Depth=1
	v_cvt_f32_u32_e32 v4, s24
	v_cvt_f32_u32_e32 v7, s25
	s_sub_u32 s0, 0, s24
	s_subb_u32 s26, 0, s25
	v_fmac_f32_e32 v4, 0x4f800000, v7
	v_rcp_f32_e32 v4, v4
	v_mul_f32_e32 v4, 0x5f7ffffc, v4
	v_mul_f32_e32 v7, 0x2f800000, v4
	v_trunc_f32_e32 v7, v7
	v_fmac_f32_e32 v4, 0xcf800000, v7
	v_cvt_u32_f32_e32 v7, v7
	v_cvt_u32_f32_e32 v4, v4
	v_mul_lo_u32 v8, s0, v7
	v_mul_hi_u32 v9, s0, v4
	v_mul_lo_u32 v10, s26, v4
	v_add_nc_u32_e32 v8, v9, v8
	v_mul_lo_u32 v9, s0, v4
	v_add_nc_u32_e32 v8, v8, v10
	v_mul_hi_u32 v10, v4, v9
	v_mul_lo_u32 v11, v4, v8
	v_mul_hi_u32 v12, v4, v8
	v_mul_hi_u32 v13, v7, v9
	v_mul_lo_u32 v9, v7, v9
	v_mul_hi_u32 v14, v7, v8
	v_mul_lo_u32 v8, v7, v8
	v_add_co_u32 v10, vcc_lo, v10, v11
	v_add_co_ci_u32_e32 v11, vcc_lo, 0, v12, vcc_lo
	v_add_co_u32 v9, vcc_lo, v10, v9
	v_add_co_ci_u32_e32 v9, vcc_lo, v11, v13, vcc_lo
	v_add_co_ci_u32_e32 v10, vcc_lo, 0, v14, vcc_lo
	v_add_co_u32 v8, vcc_lo, v9, v8
	v_add_co_ci_u32_e32 v9, vcc_lo, 0, v10, vcc_lo
	v_add_co_u32 v4, vcc_lo, v4, v8
	v_add_co_ci_u32_e32 v7, vcc_lo, v7, v9, vcc_lo
	v_mul_hi_u32 v8, s0, v4
	v_mul_lo_u32 v10, s26, v4
	v_mul_lo_u32 v9, s0, v7
	v_add_nc_u32_e32 v8, v8, v9
	v_mul_lo_u32 v9, s0, v4
	v_add_nc_u32_e32 v8, v8, v10
	v_mul_hi_u32 v10, v4, v9
	v_mul_lo_u32 v11, v4, v8
	v_mul_hi_u32 v12, v4, v8
	v_mul_hi_u32 v13, v7, v9
	v_mul_lo_u32 v9, v7, v9
	v_mul_hi_u32 v14, v7, v8
	v_mul_lo_u32 v8, v7, v8
	v_add_co_u32 v10, vcc_lo, v10, v11
	v_add_co_ci_u32_e32 v11, vcc_lo, 0, v12, vcc_lo
	v_add_co_u32 v9, vcc_lo, v10, v9
	v_add_co_ci_u32_e32 v9, vcc_lo, v11, v13, vcc_lo
	v_add_co_ci_u32_e32 v10, vcc_lo, 0, v14, vcc_lo
	v_add_co_u32 v8, vcc_lo, v9, v8
	v_add_co_ci_u32_e32 v9, vcc_lo, 0, v10, vcc_lo
	v_add_co_u32 v4, vcc_lo, v4, v8
	v_add_co_ci_u32_e32 v11, vcc_lo, v7, v9, vcc_lo
	v_mul_hi_u32 v13, v5, v4
	v_mad_u64_u32 v[9:10], null, v6, v4, 0
	v_mad_u64_u32 v[7:8], null, v5, v11, 0
	;; [unrolled: 1-line block ×3, first 2 shown]
	v_add_co_u32 v4, vcc_lo, v13, v7
	v_add_co_ci_u32_e32 v7, vcc_lo, 0, v8, vcc_lo
	v_add_co_u32 v4, vcc_lo, v4, v9
	v_add_co_ci_u32_e32 v4, vcc_lo, v7, v10, vcc_lo
	v_add_co_ci_u32_e32 v7, vcc_lo, 0, v12, vcc_lo
	v_add_co_u32 v4, vcc_lo, v4, v11
	v_add_co_ci_u32_e32 v9, vcc_lo, 0, v7, vcc_lo
	v_mul_lo_u32 v10, s25, v4
	v_mad_u64_u32 v[7:8], null, s24, v4, 0
	v_mul_lo_u32 v11, s24, v9
	v_sub_co_u32 v7, vcc_lo, v5, v7
	v_add3_u32 v8, v8, v11, v10
	v_sub_nc_u32_e32 v10, v6, v8
	v_subrev_co_ci_u32_e64 v10, s0, s25, v10, vcc_lo
	v_add_co_u32 v11, s0, v4, 2
	v_add_co_ci_u32_e64 v12, s0, 0, v9, s0
	v_sub_co_u32 v13, s0, v7, s24
	v_sub_co_ci_u32_e32 v8, vcc_lo, v6, v8, vcc_lo
	v_subrev_co_ci_u32_e64 v10, s0, 0, v10, s0
	v_cmp_le_u32_e32 vcc_lo, s24, v13
	v_cmp_eq_u32_e64 s0, s25, v8
	v_cndmask_b32_e64 v13, 0, -1, vcc_lo
	v_cmp_le_u32_e32 vcc_lo, s25, v10
	v_cndmask_b32_e64 v14, 0, -1, vcc_lo
	v_cmp_le_u32_e32 vcc_lo, s24, v7
	;; [unrolled: 2-line block ×3, first 2 shown]
	v_cndmask_b32_e64 v15, 0, -1, vcc_lo
	v_cmp_eq_u32_e32 vcc_lo, s25, v10
	v_cndmask_b32_e64 v7, v15, v7, s0
	v_cndmask_b32_e32 v10, v14, v13, vcc_lo
	v_add_co_u32 v13, vcc_lo, v4, 1
	v_add_co_ci_u32_e32 v14, vcc_lo, 0, v9, vcc_lo
	v_cmp_ne_u32_e32 vcc_lo, 0, v10
	v_cndmask_b32_e32 v8, v14, v12, vcc_lo
	v_cndmask_b32_e32 v10, v13, v11, vcc_lo
	v_cmp_ne_u32_e32 vcc_lo, 0, v7
	v_cndmask_b32_e32 v61, v9, v8, vcc_lo
	v_cndmask_b32_e32 v60, v4, v10, vcc_lo
.LBB0_4:                                ;   in Loop: Header=BB0_2 Depth=1
	s_andn2_saveexec_b32 s0, s1
	s_cbranch_execz .LBB0_6
; %bb.5:                                ;   in Loop: Header=BB0_2 Depth=1
	v_cvt_f32_u32_e32 v4, s24
	s_sub_i32 s1, 0, s24
	v_mov_b32_e32 v61, v3
	v_rcp_iflag_f32_e32 v4, v4
	v_mul_f32_e32 v4, 0x4f7ffffe, v4
	v_cvt_u32_f32_e32 v4, v4
	v_mul_lo_u32 v7, s1, v4
	v_mul_hi_u32 v7, v4, v7
	v_add_nc_u32_e32 v4, v4, v7
	v_mul_hi_u32 v4, v5, v4
	v_mul_lo_u32 v7, v4, s24
	v_add_nc_u32_e32 v8, 1, v4
	v_sub_nc_u32_e32 v7, v5, v7
	v_subrev_nc_u32_e32 v9, s24, v7
	v_cmp_le_u32_e32 vcc_lo, s24, v7
	v_cndmask_b32_e32 v7, v7, v9, vcc_lo
	v_cndmask_b32_e32 v4, v4, v8, vcc_lo
	v_cmp_le_u32_e32 vcc_lo, s24, v7
	v_add_nc_u32_e32 v8, 1, v4
	v_cndmask_b32_e32 v60, v4, v8, vcc_lo
.LBB0_6:                                ;   in Loop: Header=BB0_2 Depth=1
	s_or_b32 exec_lo, exec_lo, s0
	v_mul_lo_u32 v4, v61, s24
	v_mul_lo_u32 v9, v60, s25
	s_load_dwordx2 s[0:1], s[6:7], 0x0
	v_mad_u64_u32 v[7:8], null, v60, s24, 0
	s_load_dwordx2 s[24:25], s[2:3], 0x0
	s_add_u32 s22, s22, 1
	s_addc_u32 s23, s23, 0
	s_add_u32 s2, s2, 8
	s_addc_u32 s3, s3, 0
	s_add_u32 s6, s6, 8
	v_add3_u32 v4, v8, v9, v4
	v_sub_co_u32 v5, vcc_lo, v5, v7
	s_addc_u32 s7, s7, 0
	s_add_u32 s20, s20, 8
	v_sub_co_ci_u32_e32 v4, vcc_lo, v6, v4, vcc_lo
	s_addc_u32 s21, s21, 0
	s_waitcnt lgkmcnt(0)
	v_mul_lo_u32 v6, s0, v4
	v_mul_lo_u32 v7, s1, v5
	v_mad_u64_u32 v[1:2], null, s0, v5, v[1:2]
	v_mul_lo_u32 v4, s24, v4
	v_mul_lo_u32 v8, s25, v5
	v_mad_u64_u32 v[56:57], null, s24, v5, v[56:57]
	v_cmp_ge_u64_e64 s0, s[22:23], s[14:15]
	v_add3_u32 v2, v7, v2, v6
	v_add3_u32 v57, v8, v57, v4
	s_and_b32 vcc_lo, exec_lo, s0
	s_cbranch_vccnz .LBB0_9
; %bb.7:                                ;   in Loop: Header=BB0_2 Depth=1
	v_mov_b32_e32 v5, v60
	v_mov_b32_e32 v6, v61
	s_branch .LBB0_2
.LBB0_8:
	v_mov_b32_e32 v57, v2
	v_mov_b32_e32 v61, v6
	;; [unrolled: 1-line block ×4, first 2 shown]
.LBB0_9:
	s_load_dwordx2 s[0:1], s[4:5], 0x28
	v_mul_hi_u32 v3, 0x5555556, v0
	s_lshl_b64 s[4:5], s[14:15], 3
                                        ; implicit-def: $vgpr58
                                        ; implicit-def: $vgpr62
                                        ; implicit-def: $vgpr64
	s_add_u32 s2, s18, s4
	s_addc_u32 s3, s19, s5
	s_waitcnt lgkmcnt(0)
	v_cmp_gt_u64_e32 vcc_lo, s[0:1], v[60:61]
	v_cmp_le_u64_e64 s0, s[0:1], v[60:61]
	s_and_saveexec_b32 s1, s0
	s_xor_b32 s0, exec_lo, s1
; %bb.10:
	v_mul_u32_u24_e32 v1, 48, v3
                                        ; implicit-def: $vgpr3
	v_sub_nc_u32_e32 v58, v0, v1
                                        ; implicit-def: $vgpr0
                                        ; implicit-def: $vgpr1_vgpr2
	v_add_nc_u32_e32 v62, 48, v58
	v_add_nc_u32_e32 v64, 0x60, v58
; %bb.11:
	s_andn2_saveexec_b32 s1, s0
	s_cbranch_execz .LBB0_13
; %bb.12:
	s_add_u32 s4, s16, s4
	s_addc_u32 s5, s17, s5
	v_mul_u32_u24_e32 v3, 48, v3
	s_load_dwordx2 s[4:5], s[4:5], 0x0
	v_sub_nc_u32_e32 v58, v0, v3
	v_lshlrev_b64 v[0:1], 4, v[1:2]
	v_lshlrev_b32_e32 v44, 4, v58
	v_add_nc_u32_e32 v62, 48, v58
	v_add_nc_u32_e32 v64, 0x60, v58
	s_waitcnt lgkmcnt(0)
	v_mul_lo_u32 v6, s5, v60
	v_mul_lo_u32 v7, s4, v61
	v_mad_u64_u32 v[4:5], null, s4, v60, 0
	v_add3_u32 v5, v5, v7, v6
	v_lshlrev_b64 v[3:4], 4, v[4:5]
	v_add_co_u32 v2, s0, s8, v3
	v_add_co_ci_u32_e64 v3, s0, s9, v4, s0
	v_or_b32_e32 v4, 0xc00, v44
	v_add_co_u32 v0, s0, v2, v0
	v_add_co_ci_u32_e64 v1, s0, v3, v1, s0
	v_or_b32_e32 v2, 0x1800, v44
	v_add_co_u32 v20, s0, v0, v44
	v_add_co_ci_u32_e64 v21, s0, 0, v1, s0
	v_add_co_u32 v12, s0, v0, v4
	v_add_co_ci_u32_e64 v13, s0, 0, v1, s0
	;; [unrolled: 2-line block ×6, first 2 shown]
	s_clause 0xa
	global_load_dwordx4 v[0:3], v[20:21], off
	global_load_dwordx4 v[4:7], v[20:21], off offset:768
	global_load_dwordx4 v[8:11], v[20:21], off offset:1536
	global_load_dwordx4 v[12:15], v[12:13], off
	global_load_dwordx4 v[16:19], v[16:17], off
	global_load_dwordx4 v[20:23], v[24:25], off offset:256
	global_load_dwordx4 v[24:27], v[24:25], off offset:1792
	;; [unrolled: 1-line block ×6, first 2 shown]
	v_add_nc_u32_e32 v44, 0, v44
	s_waitcnt vmcnt(10)
	ds_write_b128 v44, v[0:3]
	s_waitcnt vmcnt(9)
	ds_write_b128 v44, v[4:7] offset:768
	s_waitcnt vmcnt(8)
	ds_write_b128 v44, v[8:11] offset:1536
	;; [unrolled: 2-line block ×10, first 2 shown]
.LBB0_13:
	s_or_b32 exec_lo, exec_lo, s1
	v_lshl_add_u32 v66, v58, 4, 0
	s_load_dwordx2 s[2:3], s[2:3], 0x0
	s_waitcnt lgkmcnt(0)
	s_barrier
	buffer_gl0_inv
	ds_read_b128 v[0:3], v66 offset:4224
	ds_read_b128 v[4:7], v66
	ds_read_b128 v[8:11], v66 offset:2112
	ds_read_b128 v[12:15], v66 offset:6336
	;; [unrolled: 1-line block ×10, first 2 shown]
	v_cmp_gt_u32_e64 s0, 36, v58
	s_waitcnt lgkmcnt(0)
	s_barrier
	buffer_gl0_inv
	v_add_f64 v[0:1], v[4:5], -v[0:1]
	v_add_f64 v[2:3], v[6:7], -v[2:3]
	;; [unrolled: 1-line block ×12, first 2 shown]
	v_fma_f64 v[44:45], v[4:5], 2.0, -v[0:1]
	v_fma_f64 v[46:47], v[6:7], 2.0, -v[2:3]
	;; [unrolled: 1-line block ×12, first 2 shown]
	v_add_f64 v[16:17], v[0:1], -v[14:15]
	v_add_f64 v[18:19], v[2:3], v[12:13]
	v_add_f64 v[20:21], v[48:49], -v[20:21]
	v_add_f64 v[22:23], v[50:51], v[22:23]
	v_add_f64 v[24:25], v[44:45], -v[4:5]
	v_add_f64 v[26:27], v[46:47], -v[6:7]
	v_add_f64 v[4:5], v[52:53], -v[38:39]
	v_add_f64 v[6:7], v[54:55], v[36:37]
	v_add_f64 v[28:29], v[67:68], -v[8:9]
	v_add_f64 v[30:31], v[69:70], -v[10:11]
	;; [unrolled: 1-line block ×4, first 2 shown]
	v_fma_f64 v[32:33], v[0:1], 2.0, -v[16:17]
	v_fma_f64 v[34:35], v[2:3], 2.0, -v[18:19]
	;; [unrolled: 1-line block ×4, first 2 shown]
	v_lshl_add_u32 v48, v62, 6, 0
	v_mad_u32_u24 v49, v58, 48, v66
	v_fma_f64 v[40:41], v[44:45], 2.0, -v[24:25]
	v_fma_f64 v[42:43], v[46:47], 2.0, -v[26:27]
	;; [unrolled: 1-line block ×6, first 2 shown]
	ds_write_b128 v49, v[16:19] offset:48
	ds_write_b128 v49, v[32:35] offset:16
	;; [unrolled: 1-line block ×3, first 2 shown]
	ds_write_b128 v49, v[40:43]
	ds_write_b128 v48, v[44:47]
	ds_write_b128 v48, v[36:39] offset:16
	ds_write_b128 v48, v[28:31] offset:32
	;; [unrolled: 1-line block ×3, first 2 shown]
	v_fma_f64 v[0:1], v[71:72], 2.0, -v[8:9]
	v_fma_f64 v[2:3], v[73:74], 2.0, -v[10:11]
	s_and_saveexec_b32 s1, s0
	s_cbranch_execz .LBB0_15
; %bb.14:
	v_lshl_add_u32 v16, v64, 6, 0
	ds_write_b128 v16, v[0:3]
	ds_write_b128 v16, v[12:15] offset:16
	ds_write_b128 v16, v[8:11] offset:32
	;; [unrolled: 1-line block ×3, first 2 shown]
.LBB0_15:
	s_or_b32 exec_lo, exec_lo, s1
	v_mad_i32_i24 v20, 0xffffffd0, v62, v48
	s_waitcnt lgkmcnt(0)
	s_barrier
	buffer_gl0_inv
	ds_read_b128 v[16:19], v66
	ds_read_b128 v[24:27], v66 offset:2112
	ds_read_b128 v[28:31], v66 offset:4224
	;; [unrolled: 1-line block ×5, first 2 shown]
	ds_read_b128 v[20:23], v20
	ds_read_b128 v[36:39], v66 offset:7104
	v_lshlrev_b32_e32 v49, 2, v62
	v_lshl_add_u32 v67, v64, 4, 0
	s_and_saveexec_b32 s1, s0
	s_cbranch_execz .LBB0_17
; %bb.16:
	ds_read_b128 v[12:15], v66 offset:3648
	ds_read_b128 v[8:11], v66 offset:5760
	ds_read_b128 v[0:3], v67
	ds_read_b128 v[4:7], v66 offset:7872
.LBB0_17:
	s_or_b32 exec_lo, exec_lo, s1
	v_and_b32_e32 v50, 3, v58
	v_mul_u32_u24_e32 v51, 3, v50
	v_lshlrev_b32_e32 v55, 4, v51
	s_clause 0x2
	global_load_dwordx4 v[51:54], v55, s[12:13]
	global_load_dwordx4 v[68:71], v55, s[12:13] offset:16
	global_load_dwordx4 v[72:75], v55, s[12:13] offset:32
	s_waitcnt vmcnt(0) lgkmcnt(0)
	s_barrier
	buffer_gl0_inv
	v_mul_f64 v[76:77], v[26:27], v[53:54]
	v_mul_f64 v[78:79], v[24:25], v[53:54]
	;; [unrolled: 1-line block ×16, first 2 shown]
	v_fma_f64 v[24:25], v[24:25], v[51:52], -v[76:77]
	v_fma_f64 v[26:27], v[26:27], v[51:52], v[78:79]
	v_fma_f64 v[44:45], v[44:45], v[51:52], -v[80:81]
	v_fma_f64 v[28:29], v[28:29], v[68:69], -v[84:85]
	v_fma_f64 v[30:31], v[30:31], v[68:69], v[86:87]
	v_fma_f64 v[40:41], v[40:41], v[72:73], -v[88:89]
	v_fma_f64 v[42:43], v[42:43], v[72:73], v[90:91]
	v_fma_f64 v[36:37], v[36:37], v[72:73], -v[96:97]
	v_mul_f64 v[76:77], v[6:7], v[74:75]
	v_mul_f64 v[74:75], v[4:5], v[74:75]
	v_fma_f64 v[46:47], v[46:47], v[51:52], v[82:83]
	v_fma_f64 v[32:33], v[32:33], v[68:69], -v[92:93]
	v_fma_f64 v[34:35], v[34:35], v[68:69], v[94:95]
	v_fma_f64 v[38:39], v[38:39], v[72:73], v[98:99]
	v_fma_f64 v[78:79], v[12:13], v[51:52], -v[100:101]
	v_fma_f64 v[51:52], v[14:15], v[51:52], v[53:54]
	v_fma_f64 v[8:9], v[8:9], v[68:69], -v[102:103]
	v_fma_f64 v[10:11], v[10:11], v[68:69], v[70:71]
	v_add_f64 v[53:54], v[16:17], -v[28:29]
	v_add_f64 v[68:69], v[18:19], -v[30:31]
	;; [unrolled: 1-line block ×5, first 2 shown]
	v_fma_f64 v[4:5], v[4:5], v[72:73], -v[76:77]
	v_fma_f64 v[6:7], v[6:7], v[72:73], v[74:75]
	v_add_f64 v[40:41], v[20:21], -v[32:33]
	v_add_f64 v[42:43], v[22:23], -v[34:35]
	;; [unrolled: 1-line block ×5, first 2 shown]
	v_fma_f64 v[8:9], v[16:17], 2.0, -v[53:54]
	v_fma_f64 v[10:11], v[18:19], 2.0, -v[68:69]
	;; [unrolled: 1-line block ×5, first 2 shown]
	v_add_f64 v[44:45], v[78:79], -v[4:5]
	v_add_f64 v[4:5], v[51:52], -v[6:7]
	;; [unrolled: 1-line block ×3, first 2 shown]
	v_fma_f64 v[74:75], v[20:21], 2.0, -v[40:41]
	v_fma_f64 v[76:77], v[22:23], 2.0, -v[42:43]
	;; [unrolled: 1-line block ×3, first 2 shown]
	v_add_f64 v[19:20], v[68:69], v[12:13]
	v_add_f64 v[21:22], v[40:41], -v[30:31]
	v_add_f64 v[23:24], v[42:43], v[28:29]
	v_fma_f64 v[12:13], v[0:1], 2.0, -v[70:71]
	v_fma_f64 v[14:15], v[2:3], 2.0, -v[72:73]
	v_lshlrev_b32_e32 v16, 2, v58
	v_and_or_b32 v46, 0x1f0, v49, v50
	v_lshl_add_u32 v46, v46, 4, 0
	v_add_f64 v[25:26], v[8:9], -v[32:33]
	v_add_f64 v[27:28], v[10:11], -v[34:35]
	v_fma_f64 v[0:1], v[78:79], 2.0, -v[44:45]
	v_fma_f64 v[2:3], v[51:52], 2.0, -v[4:5]
	v_add_f64 v[4:5], v[70:71], -v[4:5]
	v_add_f64 v[6:7], v[72:73], v[44:45]
	v_add_f64 v[29:30], v[74:75], -v[36:37]
	v_add_f64 v[31:32], v[76:77], -v[38:39]
	v_fma_f64 v[33:34], v[53:54], 2.0, -v[17:18]
	v_fma_f64 v[37:38], v[40:41], 2.0, -v[21:22]
	;; [unrolled: 1-line block ×4, first 2 shown]
	v_and_or_b32 v45, 0xf0, v16, v50
	v_mul_i32_i24_e32 v16, 0xffffffd0, v62
	v_lshl_add_u32 v45, v45, 4, 0
	v_fma_f64 v[41:42], v[8:9], 2.0, -v[25:26]
	v_fma_f64 v[43:44], v[10:11], 2.0, -v[27:28]
	v_add_f64 v[8:9], v[12:13], -v[0:1]
	v_add_f64 v[10:11], v[14:15], -v[2:3]
	v_fma_f64 v[0:1], v[70:71], 2.0, -v[4:5]
	v_fma_f64 v[2:3], v[72:73], 2.0, -v[6:7]
	;; [unrolled: 1-line block ×4, first 2 shown]
	ds_write_b128 v45, v[17:20] offset:192
	ds_write_b128 v45, v[33:36] offset:64
	;; [unrolled: 1-line block ×3, first 2 shown]
	ds_write_b128 v45, v[41:44]
	ds_write_b128 v46, v[51:54]
	ds_write_b128 v46, v[37:40] offset:64
	ds_write_b128 v46, v[29:32] offset:128
	;; [unrolled: 1-line block ×3, first 2 shown]
	s_and_saveexec_b32 s1, s0
	s_cbranch_execz .LBB0_19
; %bb.18:
	v_fma_f64 v[14:15], v[14:15], 2.0, -v[10:11]
	v_fma_f64 v[12:13], v[12:13], 2.0, -v[8:9]
	v_lshlrev_b32_e32 v17, 2, v64
	v_and_or_b32 v17, 0x3f0, v17, v50
	v_lshl_add_u32 v17, v17, 4, 0
	ds_write_b128 v17, v[0:3] offset:64
	ds_write_b128 v17, v[8:11] offset:128
	ds_write_b128 v17, v[12:15]
	ds_write_b128 v17, v[4:7] offset:192
.LBB0_19:
	s_or_b32 exec_lo, exec_lo, s1
	s_waitcnt lgkmcnt(0)
	s_barrier
	buffer_gl0_inv
	ds_read_b128 v[12:15], v66
	ds_read_b128 v[32:35], v66 offset:2816
	v_add_nc_u32_e32 v68, v48, v16
	ds_read_b128 v[44:47], v66 offset:5632
	ds_read_b128 v[36:39], v66 offset:6400
	ds_read_b128 v[16:19], v67
	ds_read_b128 v[52:55], v66 offset:3584
	ds_read_b128 v[40:43], v66 offset:4352
	ds_read_b128 v[20:23], v68
	ds_read_b128 v[48:51], v66 offset:7168
	v_cmp_gt_u32_e64 s0, 32, v58
	s_and_saveexec_b32 s1, s0
	s_cbranch_execz .LBB0_21
; %bb.20:
	ds_read_b128 v[0:3], v66 offset:2304
	ds_read_b128 v[8:11], v66 offset:5120
	;; [unrolled: 1-line block ×3, first 2 shown]
.LBB0_21:
	s_or_b32 exec_lo, exec_lo, s1
	v_and_b32_e32 v59, 15, v58
	s_mov_b32 s4, 0xe8584caa
	s_mov_b32 s5, 0x3febb67a
	;; [unrolled: 1-line block ×4, first 2 shown]
	v_lshlrev_b32_e32 v24, 5, v59
	v_lshrrev_b32_e32 v63, 4, v58
	v_lshrrev_b32_e32 v65, 4, v62
	s_clause 0x1
	global_load_dwordx4 v[28:31], v24, s[12:13] offset:192
	global_load_dwordx4 v[24:27], v24, s[12:13] offset:208
	s_waitcnt vmcnt(0) lgkmcnt(0)
	s_barrier
	buffer_gl0_inv
	v_mul_f64 v[69:70], v[34:35], v[30:31]
	v_mul_f64 v[71:72], v[46:47], v[26:27]
	;; [unrolled: 1-line block ×12, first 2 shown]
	v_fma_f64 v[32:33], v[32:33], v[28:29], -v[69:70]
	v_fma_f64 v[44:45], v[44:45], v[24:25], -v[71:72]
	v_fma_f64 v[34:35], v[34:35], v[28:29], v[73:74]
	v_fma_f64 v[46:47], v[46:47], v[24:25], v[75:76]
	v_fma_f64 v[52:53], v[52:53], v[28:29], -v[77:78]
	v_fma_f64 v[36:37], v[36:37], v[24:25], -v[79:80]
	v_fma_f64 v[54:55], v[54:55], v[28:29], v[81:82]
	v_fma_f64 v[38:39], v[38:39], v[24:25], v[83:84]
	;; [unrolled: 4-line block ×3, first 2 shown]
	v_add_f64 v[81:82], v[12:13], v[32:33]
	v_add_f64 v[69:70], v[32:33], v[44:45]
	v_add_f64 v[93:94], v[32:33], -v[44:45]
	v_add_f64 v[71:72], v[34:35], v[46:47]
	v_add_f64 v[83:84], v[34:35], -v[46:47]
	v_add_f64 v[73:74], v[52:53], v[36:37]
	v_add_f64 v[34:35], v[14:15], v[34:35]
	;; [unrolled: 1-line block ×7, first 2 shown]
	v_add_f64 v[54:55], v[54:55], -v[38:39]
	v_add_f64 v[52:53], v[52:53], -v[36:37]
	v_add_f64 v[89:90], v[16:17], v[40:41]
	v_add_f64 v[91:92], v[18:19], v[42:43]
	v_add_f64 v[95:96], v[40:41], -v[48:49]
	v_fma_f64 v[69:70], v[69:70], -0.5, v[12:13]
	v_add_f64 v[12:13], v[81:82], v[44:45]
	v_fma_f64 v[71:72], v[71:72], -0.5, v[14:15]
	v_fma_f64 v[73:74], v[73:74], -0.5, v[20:21]
	v_add_f64 v[14:15], v[34:35], v[46:47]
	v_fma_f64 v[21:22], v[75:76], -0.5, v[22:23]
	v_add_f64 v[75:76], v[42:43], -v[50:51]
	v_fma_f64 v[77:78], v[77:78], -0.5, v[16:17]
	v_lshrrev_b32_e32 v16, 4, v64
	v_fma_f64 v[79:80], v[79:80], -0.5, v[18:19]
	v_add_f64 v[17:18], v[85:86], v[36:37]
	v_add_f64 v[19:20], v[87:88], v[38:39]
	;; [unrolled: 1-line block ×4, first 2 shown]
	v_mul_u32_u24_e32 v23, 48, v63
	v_mul_lo_u32 v63, v65, 48
	v_fma_f64 v[36:37], v[83:84], s[4:5], v[69:70]
	v_fma_f64 v[40:41], v[83:84], s[6:7], v[69:70]
	;; [unrolled: 1-line block ×12, first 2 shown]
	v_mul_lo_u32 v21, v16, 48
	v_or_b32_e32 v22, v23, v59
	v_or_b32_e32 v23, v63, v59
	v_add_nc_u32_e32 v16, 0x90, v58
	v_lshl_add_u32 v22, v22, 4, 0
	v_lshl_add_u32 v23, v23, 4, 0
	v_or_b32_e32 v21, v21, v59
	v_lshl_add_u32 v21, v21, 4, 0
	ds_write_b128 v22, v[12:15]
	ds_write_b128 v22, v[36:39] offset:256
	ds_write_b128 v22, v[40:43] offset:512
	ds_write_b128 v23, v[17:20]
	ds_write_b128 v23, v[44:47] offset:256
	ds_write_b128 v23, v[48:51] offset:512
	;; [unrolled: 3-line block ×3, first 2 shown]
	s_and_saveexec_b32 s1, s0
	s_cbranch_execz .LBB0_23
; %bb.22:
	v_mul_f64 v[12:13], v[8:9], v[30:31]
	v_mul_f64 v[14:15], v[4:5], v[26:27]
	;; [unrolled: 1-line block ×4, first 2 shown]
	v_fma_f64 v[10:11], v[10:11], v[28:29], v[12:13]
	v_fma_f64 v[6:7], v[6:7], v[24:25], v[14:15]
	v_fma_f64 v[8:9], v[8:9], v[28:29], -v[17:18]
	v_fma_f64 v[4:5], v[4:5], v[24:25], -v[19:20]
	v_add_f64 v[19:20], v[2:3], v[10:11]
	v_add_f64 v[12:13], v[10:11], v[6:7]
	v_add_f64 v[21:22], v[10:11], -v[6:7]
	v_add_f64 v[14:15], v[8:9], v[4:5]
	v_add_f64 v[17:18], v[8:9], -v[4:5]
	v_add_f64 v[8:9], v[0:1], v[8:9]
	v_fma_f64 v[12:13], v[12:13], -0.5, v[2:3]
	v_add_f64 v[2:3], v[19:20], v[6:7]
	v_fma_f64 v[14:15], v[14:15], -0.5, v[0:1]
	v_add_f64 v[0:1], v[8:9], v[4:5]
	v_fma_f64 v[10:11], v[17:18], s[6:7], v[12:13]
	v_fma_f64 v[6:7], v[17:18], s[4:5], v[12:13]
	;; [unrolled: 1-line block ×4, first 2 shown]
	v_lshrrev_b32_e32 v12, 4, v16
	v_mul_u32_u24_e32 v12, 48, v12
	v_or_b32_e32 v12, v12, v59
	v_lshl_add_u32 v12, v12, 4, 0
	ds_write_b128 v12, v[0:3]
	ds_write_b128 v12, v[8:11] offset:256
	ds_write_b128 v12, v[4:7] offset:512
.LBB0_23:
	s_or_b32 exec_lo, exec_lo, s1
	v_mul_u32_u24_e32 v0, 10, v58
	s_waitcnt lgkmcnt(0)
	s_barrier
	buffer_gl0_inv
	s_mov_b32 s16, 0xf8bb580b
	v_lshlrev_b32_e32 v0, 4, v0
	s_mov_b32 s17, 0xbfe14ced
	s_mov_b32 s15, 0xbfed1bb4
	;; [unrolled: 1-line block ×4, first 2 shown]
	s_clause 0x9
	global_load_dwordx4 v[17:20], v0, s[12:13] offset:704
	global_load_dwordx4 v[21:24], v0, s[12:13] offset:848
	;; [unrolled: 1-line block ×10, first 2 shown]
	ds_read_b128 v[47:50], v68
	ds_read_b128 v[51:54], v66 offset:7680
	ds_read_b128 v[69:72], v67
	ds_read_b128 v[73:76], v66 offset:3072
	ds_read_b128 v[77:80], v66 offset:3840
	;; [unrolled: 1-line block ×3, first 2 shown]
	ds_read_b128 v[0:3], v66
	ds_read_b128 v[85:88], v66 offset:4608
	ds_read_b128 v[89:92], v66 offset:5376
	;; [unrolled: 1-line block ×4, first 2 shown]
	s_mov_b32 s21, 0xbfefac9e
	s_mov_b32 s22, 0xbb3a28a1
	;; [unrolled: 1-line block ×21, first 2 shown]
	s_waitcnt vmcnt(0) lgkmcnt(0)
	s_barrier
	buffer_gl0_inv
	v_mul_f64 v[33:34], v[49:50], v[19:20]
	v_mul_f64 v[19:20], v[47:48], v[19:20]
	;; [unrolled: 1-line block ×20, first 2 shown]
	v_fma_f64 v[47:48], v[47:48], v[17:18], -v[33:34]
	v_fma_f64 v[49:50], v[49:50], v[17:18], v[19:20]
	v_fma_f64 v[6:7], v[53:54], v[21:22], v[101:102]
	v_fma_f64 v[10:11], v[51:52], v[21:22], -v[23:24]
	v_fma_f64 v[31:32], v[69:70], v[25:26], -v[103:104]
	v_fma_f64 v[33:34], v[71:72], v[25:26], v[27:28]
	v_fma_f64 v[25:26], v[75:76], v[4:5], v[109:110]
	;; [unrolled: 1-line block ×3, first 2 shown]
	v_fma_f64 v[17:18], v[97:98], v[35:36], -v[37:38]
	v_fma_f64 v[19:20], v[95:96], v[39:40], v[113:114]
	v_fma_f64 v[21:22], v[93:94], v[39:40], -v[41:42]
	v_fma_f64 v[23:24], v[91:92], v[43:44], v[115:116]
	v_fma_f64 v[35:36], v[73:74], v[4:5], -v[117:118]
	v_fma_f64 v[4:5], v[89:90], v[43:44], -v[45:46]
	;; [unrolled: 1-line block ×3, first 2 shown]
	v_fma_f64 v[29:30], v[83:84], v[29:30], v[107:108]
	v_fma_f64 v[37:38], v[77:78], v[12:13], -v[119:120]
	v_fma_f64 v[39:40], v[79:80], v[12:13], v[121:122]
	v_fma_f64 v[12:13], v[87:88], v[8:9], v[125:126]
	v_fma_f64 v[8:9], v[85:86], v[8:9], -v[123:124]
	v_add_f64 v[41:42], v[49:50], -v[6:7]
	v_add_f64 v[43:44], v[47:48], -v[10:11]
	v_add_f64 v[45:46], v[47:48], v[10:11]
	v_add_f64 v[51:52], v[49:50], v[6:7]
	;; [unrolled: 1-line block ×4, first 2 shown]
	v_add_f64 v[53:54], v[33:34], -v[14:15]
	v_add_f64 v[69:70], v[31:32], -v[17:18]
	v_add_f64 v[77:78], v[31:32], v[17:18]
	v_add_f64 v[79:80], v[33:34], v[14:15]
	v_add_f64 v[75:76], v[25:26], -v[23:24]
	v_add_f64 v[87:88], v[35:36], -v[4:5]
	v_add_f64 v[89:90], v[25:26], v[23:24]
	v_add_f64 v[85:86], v[35:36], v[4:5]
	;; [unrolled: 4-line block ×4, first 2 shown]
	v_mul_f64 v[99:100], v[41:42], s[16:17]
	v_mul_f64 v[101:102], v[43:44], s[16:17]
	v_mul_f64 v[103:104], v[41:42], s[14:15]
	v_mul_f64 v[105:106], v[43:44], s[14:15]
	v_add_f64 v[31:32], v[47:48], v[31:32]
	v_add_f64 v[33:34], v[49:50], v[33:34]
	v_mul_f64 v[107:108], v[41:42], s[20:21]
	v_mul_f64 v[109:110], v[43:44], s[20:21]
	;; [unrolled: 1-line block ×8, first 2 shown]
	s_mov_b32 s15, 0x3fed1bb4
	v_mul_f64 v[119:120], v[71:72], s[20:21]
	v_mul_f64 v[121:122], v[73:74], s[20:21]
	v_mul_f64 v[123:124], v[75:76], s[22:23]
	v_mul_f64 v[47:48], v[53:54], s[22:23]
	v_mul_f64 v[49:50], v[53:54], s[30:31]
	v_mul_f64 v[125:126], v[53:54], s[28:29]
	v_mul_f64 v[53:54], v[53:54], s[26:27]
	v_fma_f64 v[175:176], v[45:46], s[0:1], -v[99:100]
	v_fma_f64 v[177:178], v[51:52], s[0:1], v[101:102]
	v_mul_f64 v[127:128], v[69:70], s[22:23]
	v_mul_f64 v[129:130], v[69:70], s[30:31]
	v_add_f64 v[27:28], v[31:32], v[27:28]
	v_add_f64 v[29:30], v[33:34], v[29:30]
	v_mul_f64 v[131:132], v[69:70], s[28:29]
	v_mul_f64 v[69:70], v[69:70], s[26:27]
	;; [unrolled: 1-line block ×20, first 2 shown]
	v_add_f64 v[27:28], v[27:28], v[35:36]
	v_add_f64 v[25:26], v[29:30], v[25:26]
	v_mul_f64 v[169:170], v[95:96], s[26:27]
	v_mul_f64 v[171:172], v[95:96], s[22:23]
	;; [unrolled: 1-line block ×9, first 2 shown]
	v_fma_f64 v[99:100], v[45:46], s[0:1], v[99:100]
	v_fma_f64 v[101:102], v[51:52], s[0:1], -v[101:102]
	v_fma_f64 v[179:180], v[45:46], s[4:5], -v[103:104]
	v_fma_f64 v[181:182], v[51:52], s[4:5], v[105:106]
	v_fma_f64 v[103:104], v[45:46], s[4:5], v[103:104]
	v_fma_f64 v[183:184], v[45:46], s[6:7], -v[107:108]
	v_fma_f64 v[185:186], v[51:52], s[6:7], v[109:110]
	v_fma_f64 v[107:108], v[45:46], s[6:7], v[107:108]
	;; [unrolled: 3-line block ×4, first 2 shown]
	v_fma_f64 v[43:44], v[51:52], s[18:19], -v[43:44]
	v_fma_f64 v[113:114], v[51:52], s[8:9], -v[113:114]
	;; [unrolled: 1-line block ×4, first 2 shown]
	v_add_f64 v[27:28], v[27:28], v[37:38]
	v_add_f64 v[25:26], v[25:26], v[39:40]
	v_fma_f64 v[51:52], v[77:78], s[4:5], -v[115:116]
	v_fma_f64 v[193:194], v[79:80], s[4:5], v[117:118]
	v_add_f64 v[37:38], v[0:1], v[175:176]
	v_add_f64 v[39:40], v[2:3], v[177:178]
	v_fma_f64 v[195:196], v[81:82], s[6:7], -v[119:120]
	v_fma_f64 v[197:198], v[83:84], s[6:7], v[121:122]
	v_fma_f64 v[199:200], v[85:86], s[8:9], -v[123:124]
	v_fma_f64 v[31:32], v[77:78], s[4:5], v[115:116]
	;; [unrolled: 2-line block ×21, first 2 shown]
	v_fma_f64 v[227:228], v[89:90], s[8:9], v[151:152]
	v_fma_f64 v[151:152], v[89:90], s[8:9], -v[151:152]
	v_fma_f64 v[229:230], v[89:90], s[6:7], v[153:154]
	v_fma_f64 v[153:154], v[89:90], s[6:7], -v[153:154]
	;; [unrolled: 2-line block ×4, first 2 shown]
	v_fma_f64 v[235:236], v[93:94], s[18:19], -v[159:160]
	v_fma_f64 v[159:160], v[93:94], s[18:19], v[159:160]
	v_fma_f64 v[237:238], v[93:94], s[0:1], -v[161:162]
	v_fma_f64 v[161:162], v[93:94], s[0:1], v[161:162]
	;; [unrolled: 2-line block ×4, first 2 shown]
	v_fma_f64 v[29:30], v[97:98], s[18:19], v[167:168]
	v_fma_f64 v[35:36], v[97:98], s[18:19], -v[167:168]
	v_fma_f64 v[167:168], v[97:98], s[0:1], v[169:170]
	v_fma_f64 v[169:170], v[97:98], s[0:1], -v[169:170]
	;; [unrolled: 2-line block ×4, first 2 shown]
	v_fma_f64 v[247:248], v[81:82], s[4:5], -v[71:72]
	v_fma_f64 v[71:72], v[81:82], s[4:5], v[71:72]
	v_fma_f64 v[81:82], v[83:84], s[4:5], v[73:74]
	v_fma_f64 v[73:74], v[83:84], s[4:5], -v[73:74]
	v_fma_f64 v[83:84], v[85:86], s[4:5], -v[75:76]
	v_fma_f64 v[75:76], v[85:86], s[4:5], v[75:76]
	v_fma_f64 v[85:86], v[89:90], s[4:5], v[87:88]
	v_fma_f64 v[87:88], v[89:90], s[4:5], -v[87:88]
	;; [unrolled: 4-line block ×3, first 2 shown]
	v_add_f64 v[97:98], v[0:1], v[99:100]
	v_add_f64 v[99:100], v[2:3], v[101:102]
	;; [unrolled: 1-line block ×108, first 2 shown]
	ds_write_b128 v66, v[0:3] offset:768
	ds_write_b128 v66, v[17:20] offset:1536
	;; [unrolled: 1-line block ×10, first 2 shown]
	ds_write_b128 v66, v[4:7]
	s_waitcnt lgkmcnt(0)
	s_barrier
	buffer_gl0_inv
	ds_read_b128 v[0:3], v66
	v_lshlrev_b32_e32 v4, 4, v58
	s_add_u32 s1, s12, 0x20c0
	s_addc_u32 s4, s13, 0
	s_mov_b32 s5, exec_lo
                                        ; implicit-def: $vgpr6_vgpr7
	v_sub_nc_u32_e32 v8, 0, v4
                                        ; implicit-def: $vgpr4_vgpr5
	v_cmpx_ne_u32_e32 0, v58
	s_xor_b32 s5, exec_lo, s5
	s_cbranch_execz .LBB0_25
; %bb.24:
	v_mov_b32_e32 v59, 0
	ds_read_b128 v[9:12], v8 offset:8448
	v_lshlrev_b64 v[4:5], 4, v[58:59]
	v_add_co_u32 v4, s0, s1, v4
	v_add_co_ci_u32_e64 v5, s0, s4, v5, s0
	global_load_dwordx4 v[4:7], v[4:5], off
	s_waitcnt lgkmcnt(0)
	v_add_f64 v[13:14], v[0:1], -v[9:10]
	v_add_f64 v[17:18], v[2:3], v[11:12]
	v_add_f64 v[2:3], v[2:3], -v[11:12]
	v_add_f64 v[0:1], v[0:1], v[9:10]
	v_mul_f64 v[11:12], v[13:14], 0.5
	v_mul_f64 v[13:14], v[17:18], 0.5
	;; [unrolled: 1-line block ×3, first 2 shown]
	s_waitcnt vmcnt(0)
	v_mul_f64 v[9:10], v[11:12], v[6:7]
	v_fma_f64 v[17:18], v[13:14], v[6:7], v[2:3]
	v_fma_f64 v[2:3], v[13:14], v[6:7], -v[2:3]
	v_fma_f64 v[6:7], v[0:1], 0.5, v[9:10]
	v_fma_f64 v[0:1], v[0:1], 0.5, -v[9:10]
	v_fma_f64 v[9:10], -v[4:5], v[11:12], v[17:18]
	v_fma_f64 v[2:3], -v[4:5], v[11:12], v[2:3]
	ds_write_b64 v66, v[9:10] offset:8
	ds_write_b64 v8, v[2:3] offset:8456
	v_fma_f64 v[6:7], v[13:14], v[4:5], v[6:7]
	v_fma_f64 v[4:5], -v[13:14], v[4:5], v[0:1]
                                        ; implicit-def: $vgpr0_vgpr1
.LBB0_25:
	s_andn2_saveexec_b32 s0, s5
	s_cbranch_execz .LBB0_27
; %bb.26:
	s_mov_b32 s6, 0
	v_mov_b32_e32 v11, 0
	s_mov_b32 s7, s6
	v_mov_b32_e32 v4, s6
	v_mov_b32_e32 v5, s7
	s_waitcnt lgkmcnt(0)
	v_add_f64 v[6:7], v[0:1], v[2:3]
	ds_write_b64 v66, v[4:5] offset:8
	ds_write_b64 v8, v[4:5] offset:8456
	ds_read_b64 v[9:10], v11 offset:4232
	v_add_f64 v[4:5], v[0:1], -v[2:3]
	s_waitcnt lgkmcnt(0)
	v_xor_b32_e32 v10, 0x80000000, v10
	ds_write_b64 v11, v[9:10] offset:4232
.LBB0_27:
	s_or_b32 exec_lo, exec_lo, s0
	v_mov_b32_e32 v63, 0
	ds_write_b64 v66, v[6:7]
	ds_write_b64 v8, v[4:5] offset:8448
	s_mov_b32 s5, exec_lo
	s_waitcnt lgkmcnt(2)
	v_lshlrev_b64 v[0:1], 4, v[62:63]
	v_mov_b32_e32 v65, v63
	v_mov_b32_e32 v17, v63
	v_lshlrev_b64 v[9:10], 4, v[64:65]
	v_add_co_u32 v0, s0, s1, v0
	v_add_co_ci_u32_e64 v1, s0, s4, v1, s0
	v_lshlrev_b64 v[17:18], 4, v[16:17]
	v_add_co_u32 v9, s0, s1, v9
	global_load_dwordx4 v[0:3], v[0:1], off
	v_add_co_ci_u32_e64 v10, s0, s4, v10, s0
	v_add_co_u32 v17, s0, s1, v17
	v_add_co_ci_u32_e64 v18, s0, s4, v18, s0
	global_load_dwordx4 v[9:12], v[9:10], off
	ds_read_b128 v[4:7], v68
	ds_read_b128 v[13:16], v8 offset:7680
	global_load_dwordx4 v[17:20], v[17:18], off
	s_waitcnt lgkmcnt(0)
	v_add_f64 v[21:22], v[4:5], -v[13:14]
	v_add_f64 v[23:24], v[6:7], v[15:16]
	v_add_f64 v[6:7], v[6:7], -v[15:16]
	v_add_f64 v[4:5], v[4:5], v[13:14]
	v_mul_f64 v[15:16], v[21:22], 0.5
	v_mul_f64 v[21:22], v[23:24], 0.5
	;; [unrolled: 1-line block ×3, first 2 shown]
	s_waitcnt vmcnt(2)
	v_mul_f64 v[13:14], v[15:16], v[2:3]
	v_fma_f64 v[23:24], v[21:22], v[2:3], v[6:7]
	v_fma_f64 v[2:3], v[21:22], v[2:3], -v[6:7]
	v_fma_f64 v[6:7], v[4:5], 0.5, v[13:14]
	v_fma_f64 v[13:14], v[4:5], 0.5, -v[13:14]
	v_fma_f64 v[4:5], -v[0:1], v[15:16], v[23:24]
	v_fma_f64 v[15:16], -v[0:1], v[15:16], v[2:3]
	v_fma_f64 v[2:3], v[21:22], v[0:1], v[6:7]
	v_fma_f64 v[13:14], -v[21:22], v[0:1], v[13:14]
	v_or_b32_e32 v0, 0xc0, v58
	v_mov_b32_e32 v1, v63
	ds_write_b128 v68, v[2:5]
	ds_write_b128 v8, v[13:16] offset:7680
	v_lshlrev_b64 v[21:22], 4, v[0:1]
	ds_read_b128 v[0:3], v67
	ds_read_b128 v[4:7], v8 offset:6912
	v_add_co_u32 v13, s0, s1, v21
	v_add_co_ci_u32_e64 v14, s0, s4, v22, s0
	global_load_dwordx4 v[13:16], v[13:14], off
	s_waitcnt lgkmcnt(0)
	v_add_f64 v[21:22], v[0:1], -v[4:5]
	v_add_f64 v[23:24], v[2:3], v[6:7]
	v_add_f64 v[2:3], v[2:3], -v[6:7]
	v_add_f64 v[0:1], v[0:1], v[4:5]
	v_mul_f64 v[6:7], v[21:22], 0.5
	v_mul_f64 v[21:22], v[23:24], 0.5
	;; [unrolled: 1-line block ×3, first 2 shown]
	s_waitcnt vmcnt(2)
	v_mul_f64 v[4:5], v[6:7], v[11:12]
	v_fma_f64 v[23:24], v[21:22], v[11:12], v[2:3]
	v_fma_f64 v[11:12], v[21:22], v[11:12], -v[2:3]
	v_fma_f64 v[25:26], v[0:1], 0.5, v[4:5]
	v_fma_f64 v[4:5], v[0:1], 0.5, -v[4:5]
	v_fma_f64 v[2:3], -v[9:10], v[6:7], v[23:24]
	v_fma_f64 v[6:7], -v[9:10], v[6:7], v[11:12]
	v_fma_f64 v[0:1], v[21:22], v[9:10], v[25:26]
	v_fma_f64 v[4:5], -v[21:22], v[9:10], v[4:5]
	ds_write_b128 v67, v[0:3]
	ds_write_b128 v8, v[4:7] offset:6912
	ds_read_b128 v[0:3], v66 offset:2304
	ds_read_b128 v[4:7], v8 offset:6144
	s_waitcnt lgkmcnt(0)
	v_add_f64 v[9:10], v[0:1], -v[4:5]
	v_add_f64 v[11:12], v[2:3], v[6:7]
	v_add_f64 v[2:3], v[2:3], -v[6:7]
	v_add_f64 v[0:1], v[0:1], v[4:5]
	v_mul_f64 v[6:7], v[9:10], 0.5
	v_mul_f64 v[9:10], v[11:12], 0.5
	;; [unrolled: 1-line block ×3, first 2 shown]
	s_waitcnt vmcnt(1)
	v_mul_f64 v[4:5], v[6:7], v[19:20]
	v_fma_f64 v[11:12], v[9:10], v[19:20], v[2:3]
	v_fma_f64 v[19:20], v[9:10], v[19:20], -v[2:3]
	v_fma_f64 v[21:22], v[0:1], 0.5, v[4:5]
	v_fma_f64 v[4:5], v[0:1], 0.5, -v[4:5]
	v_fma_f64 v[2:3], -v[17:18], v[6:7], v[11:12]
	v_fma_f64 v[6:7], -v[17:18], v[6:7], v[19:20]
	v_fma_f64 v[0:1], v[9:10], v[17:18], v[21:22]
	v_fma_f64 v[4:5], -v[9:10], v[17:18], v[4:5]
	ds_write_b128 v66, v[0:3] offset:2304
	ds_write_b128 v8, v[4:7] offset:6144
	ds_read_b128 v[0:3], v66 offset:3072
	ds_read_b128 v[4:7], v8 offset:5376
	s_waitcnt lgkmcnt(0)
	v_add_f64 v[9:10], v[0:1], -v[4:5]
	v_add_f64 v[11:12], v[2:3], v[6:7]
	v_add_f64 v[2:3], v[2:3], -v[6:7]
	v_add_f64 v[0:1], v[0:1], v[4:5]
	v_mul_f64 v[6:7], v[9:10], 0.5
	v_mul_f64 v[9:10], v[11:12], 0.5
	;; [unrolled: 1-line block ×3, first 2 shown]
	s_waitcnt vmcnt(0)
	v_mul_f64 v[4:5], v[6:7], v[15:16]
	v_fma_f64 v[11:12], v[9:10], v[15:16], v[2:3]
	v_fma_f64 v[15:16], v[9:10], v[15:16], -v[2:3]
	v_fma_f64 v[17:18], v[0:1], 0.5, v[4:5]
	v_fma_f64 v[4:5], v[0:1], 0.5, -v[4:5]
	v_fma_f64 v[2:3], -v[13:14], v[6:7], v[11:12]
	v_fma_f64 v[6:7], -v[13:14], v[6:7], v[15:16]
	v_fma_f64 v[0:1], v[9:10], v[13:14], v[17:18]
	v_fma_f64 v[4:5], -v[9:10], v[13:14], v[4:5]
	ds_write_b128 v66, v[0:3] offset:3072
	ds_write_b128 v8, v[4:7] offset:5376
	v_cmpx_gt_u32_e32 24, v58
	s_cbranch_execz .LBB0_29
; %bb.28:
	v_add_nc_u32_e32 v62, 0xf0, v58
	v_lshlrev_b64 v[0:1], 4, v[62:63]
	v_add_co_u32 v0, s0, s1, v0
	v_add_co_ci_u32_e64 v1, s0, s4, v1, s0
	global_load_dwordx4 v[0:3], v[0:1], off
	ds_read_b128 v[4:7], v66 offset:3840
	ds_read_b128 v[9:12], v8 offset:4608
	s_waitcnt lgkmcnt(0)
	v_add_f64 v[13:14], v[4:5], -v[9:10]
	v_add_f64 v[15:16], v[6:7], v[11:12]
	v_add_f64 v[6:7], v[6:7], -v[11:12]
	v_add_f64 v[4:5], v[4:5], v[9:10]
	v_mul_f64 v[11:12], v[13:14], 0.5
	v_mul_f64 v[13:14], v[15:16], 0.5
	;; [unrolled: 1-line block ×3, first 2 shown]
	s_waitcnt vmcnt(0)
	v_mul_f64 v[9:10], v[11:12], v[2:3]
	v_fma_f64 v[15:16], v[13:14], v[2:3], v[6:7]
	v_fma_f64 v[2:3], v[13:14], v[2:3], -v[6:7]
	v_fma_f64 v[6:7], v[4:5], 0.5, v[9:10]
	v_fma_f64 v[9:10], v[4:5], 0.5, -v[9:10]
	v_fma_f64 v[4:5], -v[0:1], v[11:12], v[15:16]
	v_fma_f64 v[11:12], -v[0:1], v[11:12], v[2:3]
	v_fma_f64 v[2:3], v[13:14], v[0:1], v[6:7]
	v_fma_f64 v[9:10], -v[13:14], v[0:1], v[9:10]
	ds_write_b128 v66, v[2:5] offset:3840
	ds_write_b128 v8, v[9:12] offset:4608
.LBB0_29:
	s_or_b32 exec_lo, exec_lo, s5
	s_waitcnt lgkmcnt(0)
	s_barrier
	buffer_gl0_inv
	s_and_saveexec_b32 s0, vcc_lo
	s_cbranch_execz .LBB0_32
; %bb.30:
	v_mul_lo_u32 v2, s3, v60
	v_mul_lo_u32 v3, s2, v61
	v_mad_u64_u32 v[0:1], null, s2, v60, 0
	v_mov_b32_e32 v59, 0
	v_lshl_add_u32 v26, v58, 4, 0
	v_lshlrev_b64 v[14:15], 4, v[56:57]
	v_add_nc_u32_e32 v16, 48, v58
	v_add_nc_u32_e32 v18, 0x60, v58
	v_mov_b32_e32 v17, v59
	v_add3_u32 v1, v1, v3, v2
	ds_read_b128 v[2:5], v26
	ds_read_b128 v[6:9], v26 offset:768
	v_lshlrev_b64 v[20:21], 4, v[58:59]
	v_mov_b32_e32 v19, v59
	ds_read_b128 v[10:13], v26 offset:1536
	v_lshlrev_b64 v[0:1], 4, v[0:1]
	v_add_nc_u32_e32 v24, 0x90, v58
	v_mov_b32_e32 v25, v59
	v_lshlrev_b64 v[18:19], 4, v[18:19]
	v_add_co_u32 v0, vcc_lo, s10, v0
	v_add_co_ci_u32_e32 v1, vcc_lo, s11, v1, vcc_lo
	v_add_co_u32 v0, vcc_lo, v0, v14
	v_add_co_ci_u32_e32 v1, vcc_lo, v1, v15, vcc_lo
	v_lshlrev_b64 v[14:15], 4, v[16:17]
	v_add_co_u32 v20, vcc_lo, v0, v20
	v_add_co_ci_u32_e32 v21, vcc_lo, v1, v21, vcc_lo
	v_add_co_u32 v22, vcc_lo, v0, v14
	v_add_co_ci_u32_e32 v23, vcc_lo, v1, v15, vcc_lo
	ds_read_b128 v[14:17], v26 offset:2304
	s_waitcnt lgkmcnt(3)
	global_store_dwordx4 v[20:21], v[2:5], off
	s_waitcnt lgkmcnt(2)
	global_store_dwordx4 v[22:23], v[6:9], off
	v_lshlrev_b64 v[2:3], 4, v[24:25]
	v_add_co_u32 v4, vcc_lo, v0, v18
	v_add_co_ci_u32_e32 v5, vcc_lo, v1, v19, vcc_lo
	v_add_nc_u32_e32 v6, 0xc0, v58
	v_add_co_u32 v2, vcc_lo, v0, v2
	v_add_co_ci_u32_e32 v3, vcc_lo, v1, v3, vcc_lo
	v_mov_b32_e32 v7, v59
	s_waitcnt lgkmcnt(1)
	global_store_dwordx4 v[4:5], v[10:13], off
	v_add_nc_u32_e32 v10, 0xf0, v58
	v_mov_b32_e32 v11, v59
	v_add_nc_u32_e32 v18, 0x120, v58
	v_mov_b32_e32 v19, v59
	v_add_nc_u32_e32 v20, 0x150, v58
	s_waitcnt lgkmcnt(0)
	global_store_dwordx4 v[2:3], v[14:17], off
	v_lshlrev_b64 v[14:15], 4, v[6:7]
	ds_read_b128 v[2:5], v26 offset:3072
	ds_read_b128 v[6:9], v26 offset:3840
	v_lshlrev_b64 v[16:17], 4, v[10:11]
	ds_read_b128 v[10:13], v26 offset:4608
	v_lshlrev_b64 v[18:19], 4, v[18:19]
	v_mov_b32_e32 v21, v59
	v_add_co_u32 v14, vcc_lo, v0, v14
	v_add_co_ci_u32_e32 v15, vcc_lo, v1, v15, vcc_lo
	v_add_co_u32 v16, vcc_lo, v0, v16
	v_add_co_ci_u32_e32 v17, vcc_lo, v1, v17, vcc_lo
	v_add_co_u32 v18, vcc_lo, v0, v18
	s_waitcnt lgkmcnt(2)
	global_store_dwordx4 v[14:15], v[2:5], off
	s_waitcnt lgkmcnt(1)
	global_store_dwordx4 v[16:17], v[6:9], off
	v_lshlrev_b64 v[6:7], 4, v[20:21]
	v_add_co_ci_u32_e32 v19, vcc_lo, v1, v19, vcc_lo
	v_add_nc_u32_e32 v8, 0x180, v58
	v_mov_b32_e32 v9, v59
	v_add_nc_u32_e32 v14, 0x1b0, v58
	s_waitcnt lgkmcnt(0)
	global_store_dwordx4 v[18:19], v[10:13], off
	v_mov_b32_e32 v15, v59
	v_add_co_u32 v18, vcc_lo, v0, v6
	ds_read_b128 v[2:5], v26 offset:5376
	v_add_co_ci_u32_e32 v19, vcc_lo, v1, v7, vcc_lo
	v_lshlrev_b64 v[20:21], 4, v[8:9]
	ds_read_b128 v[6:9], v26 offset:6144
	ds_read_b128 v[10:13], v26 offset:6912
	v_add_nc_u32_e32 v24, 0x1e0, v58
	v_lshlrev_b64 v[22:23], 4, v[14:15]
	ds_read_b128 v[14:17], v26 offset:7680
	v_add_co_u32 v20, vcc_lo, v0, v20
	v_lshlrev_b64 v[24:25], 4, v[24:25]
	v_add_co_ci_u32_e32 v21, vcc_lo, v1, v21, vcc_lo
	v_add_co_u32 v22, vcc_lo, v0, v22
	v_add_co_ci_u32_e32 v23, vcc_lo, v1, v23, vcc_lo
	v_add_co_u32 v24, vcc_lo, v0, v24
	v_add_co_ci_u32_e32 v25, vcc_lo, v1, v25, vcc_lo
	v_cmp_eq_u32_e32 vcc_lo, 47, v58
	s_waitcnt lgkmcnt(3)
	global_store_dwordx4 v[18:19], v[2:5], off
	s_waitcnt lgkmcnt(2)
	global_store_dwordx4 v[20:21], v[6:9], off
	;; [unrolled: 2-line block ×4, first 2 shown]
	s_and_b32 exec_lo, exec_lo, vcc_lo
	s_cbranch_execz .LBB0_32
; %bb.31:
	ds_read_b128 v[2:5], v59 offset:8448
	v_add_co_u32 v0, vcc_lo, 0x2000, v0
	v_add_co_ci_u32_e32 v1, vcc_lo, 0, v1, vcc_lo
	s_waitcnt lgkmcnt(0)
	global_store_dwordx4 v[0:1], v[2:5], off offset:256
.LBB0_32:
	s_endpgm
	.section	.rodata,"a",@progbits
	.p2align	6, 0x0
	.amdhsa_kernel fft_rtc_fwd_len528_factors_4_4_3_11_wgs_48_tpt_48_halfLds_dp_op_CI_CI_unitstride_sbrr_R2C_dirReg
		.amdhsa_group_segment_fixed_size 0
		.amdhsa_private_segment_fixed_size 0
		.amdhsa_kernarg_size 104
		.amdhsa_user_sgpr_count 6
		.amdhsa_user_sgpr_private_segment_buffer 1
		.amdhsa_user_sgpr_dispatch_ptr 0
		.amdhsa_user_sgpr_queue_ptr 0
		.amdhsa_user_sgpr_kernarg_segment_ptr 1
		.amdhsa_user_sgpr_dispatch_id 0
		.amdhsa_user_sgpr_flat_scratch_init 0
		.amdhsa_user_sgpr_private_segment_size 0
		.amdhsa_wavefront_size32 1
		.amdhsa_uses_dynamic_stack 0
		.amdhsa_system_sgpr_private_segment_wavefront_offset 0
		.amdhsa_system_sgpr_workgroup_id_x 1
		.amdhsa_system_sgpr_workgroup_id_y 0
		.amdhsa_system_sgpr_workgroup_id_z 0
		.amdhsa_system_sgpr_workgroup_info 0
		.amdhsa_system_vgpr_workitem_id 0
		.amdhsa_next_free_vgpr 249
		.amdhsa_next_free_sgpr 32
		.amdhsa_reserve_vcc 1
		.amdhsa_reserve_flat_scratch 0
		.amdhsa_float_round_mode_32 0
		.amdhsa_float_round_mode_16_64 0
		.amdhsa_float_denorm_mode_32 3
		.amdhsa_float_denorm_mode_16_64 3
		.amdhsa_dx10_clamp 1
		.amdhsa_ieee_mode 1
		.amdhsa_fp16_overflow 0
		.amdhsa_workgroup_processor_mode 1
		.amdhsa_memory_ordered 1
		.amdhsa_forward_progress 0
		.amdhsa_shared_vgpr_count 0
		.amdhsa_exception_fp_ieee_invalid_op 0
		.amdhsa_exception_fp_denorm_src 0
		.amdhsa_exception_fp_ieee_div_zero 0
		.amdhsa_exception_fp_ieee_overflow 0
		.amdhsa_exception_fp_ieee_underflow 0
		.amdhsa_exception_fp_ieee_inexact 0
		.amdhsa_exception_int_div_zero 0
	.end_amdhsa_kernel
	.text
.Lfunc_end0:
	.size	fft_rtc_fwd_len528_factors_4_4_3_11_wgs_48_tpt_48_halfLds_dp_op_CI_CI_unitstride_sbrr_R2C_dirReg, .Lfunc_end0-fft_rtc_fwd_len528_factors_4_4_3_11_wgs_48_tpt_48_halfLds_dp_op_CI_CI_unitstride_sbrr_R2C_dirReg
                                        ; -- End function
	.section	.AMDGPU.csdata,"",@progbits
; Kernel info:
; codeLenInByte = 9796
; NumSgprs: 34
; NumVgprs: 249
; ScratchSize: 0
; MemoryBound: 0
; FloatMode: 240
; IeeeMode: 1
; LDSByteSize: 0 bytes/workgroup (compile time only)
; SGPRBlocks: 4
; VGPRBlocks: 31
; NumSGPRsForWavesPerEU: 34
; NumVGPRsForWavesPerEU: 249
; Occupancy: 4
; WaveLimiterHint : 1
; COMPUTE_PGM_RSRC2:SCRATCH_EN: 0
; COMPUTE_PGM_RSRC2:USER_SGPR: 6
; COMPUTE_PGM_RSRC2:TRAP_HANDLER: 0
; COMPUTE_PGM_RSRC2:TGID_X_EN: 1
; COMPUTE_PGM_RSRC2:TGID_Y_EN: 0
; COMPUTE_PGM_RSRC2:TGID_Z_EN: 0
; COMPUTE_PGM_RSRC2:TIDIG_COMP_CNT: 0
	.text
	.p2alignl 6, 3214868480
	.fill 48, 4, 3214868480
	.type	__hip_cuid_ea56458de0e136e5,@object ; @__hip_cuid_ea56458de0e136e5
	.section	.bss,"aw",@nobits
	.globl	__hip_cuid_ea56458de0e136e5
__hip_cuid_ea56458de0e136e5:
	.byte	0                               ; 0x0
	.size	__hip_cuid_ea56458de0e136e5, 1

	.ident	"AMD clang version 19.0.0git (https://github.com/RadeonOpenCompute/llvm-project roc-6.4.0 25133 c7fe45cf4b819c5991fe208aaa96edf142730f1d)"
	.section	".note.GNU-stack","",@progbits
	.addrsig
	.addrsig_sym __hip_cuid_ea56458de0e136e5
	.amdgpu_metadata
---
amdhsa.kernels:
  - .args:
      - .actual_access:  read_only
        .address_space:  global
        .offset:         0
        .size:           8
        .value_kind:     global_buffer
      - .offset:         8
        .size:           8
        .value_kind:     by_value
      - .actual_access:  read_only
        .address_space:  global
        .offset:         16
        .size:           8
        .value_kind:     global_buffer
      - .actual_access:  read_only
        .address_space:  global
        .offset:         24
        .size:           8
        .value_kind:     global_buffer
      - .actual_access:  read_only
        .address_space:  global
        .offset:         32
        .size:           8
        .value_kind:     global_buffer
      - .offset:         40
        .size:           8
        .value_kind:     by_value
      - .actual_access:  read_only
        .address_space:  global
        .offset:         48
        .size:           8
        .value_kind:     global_buffer
      - .actual_access:  read_only
        .address_space:  global
        .offset:         56
        .size:           8
        .value_kind:     global_buffer
      - .offset:         64
        .size:           4
        .value_kind:     by_value
      - .actual_access:  read_only
        .address_space:  global
        .offset:         72
        .size:           8
        .value_kind:     global_buffer
      - .actual_access:  read_only
        .address_space:  global
        .offset:         80
        .size:           8
        .value_kind:     global_buffer
      - .actual_access:  read_only
        .address_space:  global
        .offset:         88
        .size:           8
        .value_kind:     global_buffer
      - .actual_access:  write_only
        .address_space:  global
        .offset:         96
        .size:           8
        .value_kind:     global_buffer
    .group_segment_fixed_size: 0
    .kernarg_segment_align: 8
    .kernarg_segment_size: 104
    .language:       OpenCL C
    .language_version:
      - 2
      - 0
    .max_flat_workgroup_size: 48
    .name:           fft_rtc_fwd_len528_factors_4_4_3_11_wgs_48_tpt_48_halfLds_dp_op_CI_CI_unitstride_sbrr_R2C_dirReg
    .private_segment_fixed_size: 0
    .sgpr_count:     34
    .sgpr_spill_count: 0
    .symbol:         fft_rtc_fwd_len528_factors_4_4_3_11_wgs_48_tpt_48_halfLds_dp_op_CI_CI_unitstride_sbrr_R2C_dirReg.kd
    .uniform_work_group_size: 1
    .uses_dynamic_stack: false
    .vgpr_count:     249
    .vgpr_spill_count: 0
    .wavefront_size: 32
    .workgroup_processor_mode: 1
amdhsa.target:   amdgcn-amd-amdhsa--gfx1030
amdhsa.version:
  - 1
  - 2
...

	.end_amdgpu_metadata
